;; amdgpu-corpus repo=zjin-lcf/HeCBench kind=compiled arch=gfx1250 opt=O3
	.amdgcn_target "amdgcn-amd-amdhsa--gfx1250"
	.amdhsa_code_object_version 6
	.section	.text._Z24ChannelShuffleNHWCKernelIfLi32EEviiPKT_PS0_,"axG",@progbits,_Z24ChannelShuffleNHWCKernelIfLi32EEviiPKT_PS0_,comdat
	.protected	_Z24ChannelShuffleNHWCKernelIfLi32EEviiPKT_PS0_ ; -- Begin function _Z24ChannelShuffleNHWCKernelIfLi32EEviiPKT_PS0_
	.globl	_Z24ChannelShuffleNHWCKernelIfLi32EEviiPKT_PS0_
	.p2align	8
	.type	_Z24ChannelShuffleNHWCKernelIfLi32EEviiPKT_PS0_,@function
_Z24ChannelShuffleNHWCKernelIfLi32EEviiPKT_PS0_: ; @_Z24ChannelShuffleNHWCKernelIfLi32EEviiPKT_PS0_
; %bb.0:
	s_clause 0x1
	s_load_b64 s[8:9], s[0:1], 0x0
	s_load_b128 s[4:7], s[0:1], 0x8
	s_bfe_u32 s2, ttmp6, 0x4000c
	s_and_b32 s10, ttmp6, 15
	s_add_co_i32 s2, s2, 1
	s_getreg_b32 s11, hwreg(HW_REG_IB_STS2, 6, 4)
	s_mul_i32 s2, ttmp9, s2
	s_mov_b32 s12, 0
	s_add_co_i32 s10, s10, s2
	s_cmp_eq_u32 s11, 0
	s_cselect_b32 s2, ttmp9, s10
	s_wait_kmcnt 0x0
	s_mul_i32 s3, s9, s8
	s_delay_alu instid0(SALU_CYCLE_1)
	v_cmp_gt_i32_e32 vcc_lo, s3, v0
	s_mul_i32 s10, s3, s2
	s_and_saveexec_b32 s13, vcc_lo
	s_cbranch_execz .LBB0_3
; %bb.1:
	s_load_b32 s2, s[0:1], 0x24
	s_ashr_i32 s11, s10, 31
	v_dual_mov_b32 v2, v0 :: v_dual_lshlrev_b32 v1, 2, v0
	s_lshl_b64 s[14:15], s[10:11], 2
	s_delay_alu instid0(SALU_CYCLE_1) | instskip(SKIP_2) | instid1(SALU_CYCLE_1)
	s_add_nc_u64 s[4:5], s[4:5], s[14:15]
	s_wait_kmcnt 0x0
	s_and_b32 s11, s2, 0xffff
	s_lshl_b32 s14, s11, 2
.LBB0_2:                                ; =>This Inner Loop Header: Depth=1
	global_load_b32 v3, v2, s[4:5] scale_offset
	s_wait_xcnt 0x0
	v_add_nc_u32_e32 v2, s11, v2
	s_wait_loadcnt 0x0
	ds_store_b32 v1, v3
	v_add_nc_u32_e32 v1, s14, v1
	v_cmp_le_i32_e64 s2, s3, v2
	s_or_b32 s12, s2, s12
	s_delay_alu instid0(SALU_CYCLE_1)
	s_and_not1_b32 exec_lo, exec_lo, s12
	s_cbranch_execnz .LBB0_2
.LBB0_3:
	s_or_b32 exec_lo, exec_lo, s13
	s_wait_dscnt 0x0
	s_barrier_signal -1
	s_barrier_wait -1
	s_and_saveexec_b32 s2, vcc_lo
	s_cbranch_execz .LBB0_6
; %bb.4:
	s_abs_i32 s2, s8
	s_load_b32 s0, s[0:1], 0x24
	s_cvt_f32_u32 s4, s2
	s_sub_co_i32 s12, 0, s2
	v_mov_b32_e32 v3, 0
	s_sub_co_i32 s5, 0, s8
	v_rcp_iflag_f32_e32 v1, s4
	s_ashr_i32 s4, s8, 31
	s_wait_xcnt 0x0
	v_nop
	s_delay_alu instid0(TRANS32_DEP_1) | instskip(SKIP_3) | instid1(SALU_CYCLE_1)
	v_readfirstlane_b32 s1, v1
	s_mul_f32 s1, s1, 0x4f7ffffe
	s_wait_kmcnt 0x0
	s_and_b32 s8, s0, 0xffff
	s_cvt_u32_f32 s11, s1
	s_mov_b32 s1, 0
	s_delay_alu instid0(SALU_CYCLE_2) | instskip(NEXT) | instid1(SALU_CYCLE_1)
	s_mul_i32 s12, s12, s11
	s_mul_hi_u32 s12, s11, s12
	s_delay_alu instid0(SALU_CYCLE_1)
	s_add_co_i32 s0, s11, s12
	s_mov_b32 s11, s1
.LBB0_5:                                ; =>This Inner Loop Header: Depth=1
	v_sub_nc_u32_e32 v1, 0, v0
	s_delay_alu instid0(VALU_DEP_1) | instskip(NEXT) | instid1(VALU_DEP_1)
	v_max_i32_e32 v2, v0, v1
	v_mul_u64_e32 v[4:5], s[0:1], v[2:3]
	s_delay_alu instid0(VALU_DEP_1) | instskip(SKIP_1) | instid1(VALU_DEP_2)
	v_mul_lo_u32 v1, v5, s2
	v_add_nc_u32_e32 v4, 1, v5
	v_sub_nc_u32_e32 v1, v2, v1
	s_delay_alu instid0(VALU_DEP_1) | instskip(NEXT) | instid1(VALU_DEP_3)
	v_cmp_le_u32_e32 vcc_lo, s2, v1
	v_cndmask_b32_e32 v4, v5, v4, vcc_lo
	v_ashrrev_i32_e32 v5, 31, v0
	v_subrev_nc_u32_e32 v2, s2, v1
	s_delay_alu instid0(VALU_DEP_1) | instskip(NEXT) | instid1(VALU_DEP_1)
	v_dual_cndmask_b32 v1, v1, v2 :: v_dual_add_nc_u32 v2, 1, v4
	v_cmp_le_u32_e32 vcc_lo, s2, v1
	s_delay_alu instid0(VALU_DEP_2) | instskip(NEXT) | instid1(VALU_DEP_1)
	v_dual_cndmask_b32 v1, v4, v2, vcc_lo :: v_dual_bitop2_b32 v5, s4, v5 bitop3:0x14
	v_xor_b32_e32 v1, v1, v5
	s_delay_alu instid0(VALU_DEP_1) | instskip(NEXT) | instid1(VALU_DEP_1)
	v_sub_nc_u32_e32 v1, v1, v5
	v_mad_u32 v2, s5, v1, v0
	v_lshlrev_b32_e32 v1, 2, v1
	s_delay_alu instid0(VALU_DEP_2) | instskip(NEXT) | instid1(VALU_DEP_1)
	v_mul_lo_u32 v2, v2, s9
	v_lshl_add_u32 v1, v2, 2, v1
	v_dual_add_nc_u32 v2, s10, v0 :: v_dual_add_nc_u32 v0, s8, v0
	ds_load_b32 v1, v1
	v_cmp_le_i32_e32 vcc_lo, s3, v0
	s_or_b32 s11, vcc_lo, s11
	s_wait_dscnt 0x0
	global_store_b32 v2, v1, s[6:7] scale_offset
	s_wait_xcnt 0x0
	s_and_not1_b32 exec_lo, exec_lo, s11
	s_cbranch_execnz .LBB0_5
.LBB0_6:
	s_endpgm
	.section	.rodata,"a",@progbits
	.p2align	6, 0x0
	.amdhsa_kernel _Z24ChannelShuffleNHWCKernelIfLi32EEviiPKT_PS0_
		.amdhsa_group_segment_fixed_size 128
		.amdhsa_private_segment_fixed_size 0
		.amdhsa_kernarg_size 280
		.amdhsa_user_sgpr_count 2
		.amdhsa_user_sgpr_dispatch_ptr 0
		.amdhsa_user_sgpr_queue_ptr 0
		.amdhsa_user_sgpr_kernarg_segment_ptr 1
		.amdhsa_user_sgpr_dispatch_id 0
		.amdhsa_user_sgpr_kernarg_preload_length 0
		.amdhsa_user_sgpr_kernarg_preload_offset 0
		.amdhsa_user_sgpr_private_segment_size 0
		.amdhsa_wavefront_size32 1
		.amdhsa_uses_dynamic_stack 0
		.amdhsa_enable_private_segment 0
		.amdhsa_system_sgpr_workgroup_id_x 1
		.amdhsa_system_sgpr_workgroup_id_y 0
		.amdhsa_system_sgpr_workgroup_id_z 0
		.amdhsa_system_sgpr_workgroup_info 0
		.amdhsa_system_vgpr_workitem_id 0
		.amdhsa_next_free_vgpr 6
		.amdhsa_next_free_sgpr 16
		.amdhsa_named_barrier_count 0
		.amdhsa_reserve_vcc 1
		.amdhsa_float_round_mode_32 0
		.amdhsa_float_round_mode_16_64 0
		.amdhsa_float_denorm_mode_32 3
		.amdhsa_float_denorm_mode_16_64 3
		.amdhsa_fp16_overflow 0
		.amdhsa_memory_ordered 1
		.amdhsa_forward_progress 1
		.amdhsa_inst_pref_size 5
		.amdhsa_round_robin_scheduling 0
		.amdhsa_exception_fp_ieee_invalid_op 0
		.amdhsa_exception_fp_denorm_src 0
		.amdhsa_exception_fp_ieee_div_zero 0
		.amdhsa_exception_fp_ieee_overflow 0
		.amdhsa_exception_fp_ieee_underflow 0
		.amdhsa_exception_fp_ieee_inexact 0
		.amdhsa_exception_int_div_zero 0
	.end_amdhsa_kernel
	.section	.text._Z24ChannelShuffleNHWCKernelIfLi32EEviiPKT_PS0_,"axG",@progbits,_Z24ChannelShuffleNHWCKernelIfLi32EEviiPKT_PS0_,comdat
.Lfunc_end0:
	.size	_Z24ChannelShuffleNHWCKernelIfLi32EEviiPKT_PS0_, .Lfunc_end0-_Z24ChannelShuffleNHWCKernelIfLi32EEviiPKT_PS0_
                                        ; -- End function
	.set _Z24ChannelShuffleNHWCKernelIfLi32EEviiPKT_PS0_.num_vgpr, 6
	.set _Z24ChannelShuffleNHWCKernelIfLi32EEviiPKT_PS0_.num_agpr, 0
	.set _Z24ChannelShuffleNHWCKernelIfLi32EEviiPKT_PS0_.numbered_sgpr, 16
	.set _Z24ChannelShuffleNHWCKernelIfLi32EEviiPKT_PS0_.num_named_barrier, 0
	.set _Z24ChannelShuffleNHWCKernelIfLi32EEviiPKT_PS0_.private_seg_size, 0
	.set _Z24ChannelShuffleNHWCKernelIfLi32EEviiPKT_PS0_.uses_vcc, 1
	.set _Z24ChannelShuffleNHWCKernelIfLi32EEviiPKT_PS0_.uses_flat_scratch, 0
	.set _Z24ChannelShuffleNHWCKernelIfLi32EEviiPKT_PS0_.has_dyn_sized_stack, 0
	.set _Z24ChannelShuffleNHWCKernelIfLi32EEviiPKT_PS0_.has_recursion, 0
	.set _Z24ChannelShuffleNHWCKernelIfLi32EEviiPKT_PS0_.has_indirect_call, 0
	.section	.AMDGPU.csdata,"",@progbits
; Kernel info:
; codeLenInByte = 516
; TotalNumSgprs: 18
; NumVgprs: 6
; ScratchSize: 0
; MemoryBound: 0
; FloatMode: 240
; IeeeMode: 1
; LDSByteSize: 128 bytes/workgroup (compile time only)
; SGPRBlocks: 0
; VGPRBlocks: 0
; NumSGPRsForWavesPerEU: 18
; NumVGPRsForWavesPerEU: 6
; NamedBarCnt: 0
; Occupancy: 16
; WaveLimiterHint : 0
; COMPUTE_PGM_RSRC2:SCRATCH_EN: 0
; COMPUTE_PGM_RSRC2:USER_SGPR: 2
; COMPUTE_PGM_RSRC2:TRAP_HANDLER: 0
; COMPUTE_PGM_RSRC2:TGID_X_EN: 1
; COMPUTE_PGM_RSRC2:TGID_Y_EN: 0
; COMPUTE_PGM_RSRC2:TGID_Z_EN: 0
; COMPUTE_PGM_RSRC2:TIDIG_COMP_CNT: 0
	.section	.text._Z24ChannelShuffleNHWCKernelIfLi128EEviiPKT_PS0_,"axG",@progbits,_Z24ChannelShuffleNHWCKernelIfLi128EEviiPKT_PS0_,comdat
	.protected	_Z24ChannelShuffleNHWCKernelIfLi128EEviiPKT_PS0_ ; -- Begin function _Z24ChannelShuffleNHWCKernelIfLi128EEviiPKT_PS0_
	.globl	_Z24ChannelShuffleNHWCKernelIfLi128EEviiPKT_PS0_
	.p2align	8
	.type	_Z24ChannelShuffleNHWCKernelIfLi128EEviiPKT_PS0_,@function
_Z24ChannelShuffleNHWCKernelIfLi128EEviiPKT_PS0_: ; @_Z24ChannelShuffleNHWCKernelIfLi128EEviiPKT_PS0_
; %bb.0:
	s_clause 0x1
	s_load_b64 s[8:9], s[0:1], 0x0
	s_load_b128 s[4:7], s[0:1], 0x8
	s_bfe_u32 s2, ttmp6, 0x4000c
	s_and_b32 s10, ttmp6, 15
	s_add_co_i32 s2, s2, 1
	s_getreg_b32 s11, hwreg(HW_REG_IB_STS2, 6, 4)
	s_mul_i32 s2, ttmp9, s2
	s_mov_b32 s12, 0
	s_add_co_i32 s10, s10, s2
	s_cmp_eq_u32 s11, 0
	s_cselect_b32 s2, ttmp9, s10
	s_wait_kmcnt 0x0
	s_mul_i32 s3, s9, s8
	s_delay_alu instid0(SALU_CYCLE_1)
	v_cmp_gt_i32_e32 vcc_lo, s3, v0
	s_mul_i32 s10, s3, s2
	s_and_saveexec_b32 s13, vcc_lo
	s_cbranch_execz .LBB1_3
; %bb.1:
	s_load_b32 s2, s[0:1], 0x24
	s_ashr_i32 s11, s10, 31
	v_dual_mov_b32 v2, v0 :: v_dual_lshlrev_b32 v1, 2, v0
	s_lshl_b64 s[14:15], s[10:11], 2
	s_delay_alu instid0(SALU_CYCLE_1) | instskip(SKIP_2) | instid1(SALU_CYCLE_1)
	s_add_nc_u64 s[4:5], s[4:5], s[14:15]
	s_wait_kmcnt 0x0
	s_and_b32 s11, s2, 0xffff
	s_lshl_b32 s14, s11, 2
.LBB1_2:                                ; =>This Inner Loop Header: Depth=1
	global_load_b32 v3, v2, s[4:5] scale_offset
	s_wait_xcnt 0x0
	v_add_nc_u32_e32 v2, s11, v2
	s_wait_loadcnt 0x0
	ds_store_b32 v1, v3
	v_add_nc_u32_e32 v1, s14, v1
	v_cmp_le_i32_e64 s2, s3, v2
	s_or_b32 s12, s2, s12
	s_delay_alu instid0(SALU_CYCLE_1)
	s_and_not1_b32 exec_lo, exec_lo, s12
	s_cbranch_execnz .LBB1_2
.LBB1_3:
	s_or_b32 exec_lo, exec_lo, s13
	s_wait_dscnt 0x0
	s_barrier_signal -1
	s_barrier_wait -1
	s_and_saveexec_b32 s2, vcc_lo
	s_cbranch_execz .LBB1_6
; %bb.4:
	s_abs_i32 s2, s8
	s_load_b32 s0, s[0:1], 0x24
	s_cvt_f32_u32 s4, s2
	s_sub_co_i32 s12, 0, s2
	v_mov_b32_e32 v3, 0
	s_sub_co_i32 s5, 0, s8
	v_rcp_iflag_f32_e32 v1, s4
	s_ashr_i32 s4, s8, 31
	s_wait_xcnt 0x0
	v_nop
	s_delay_alu instid0(TRANS32_DEP_1) | instskip(SKIP_3) | instid1(SALU_CYCLE_1)
	v_readfirstlane_b32 s1, v1
	s_mul_f32 s1, s1, 0x4f7ffffe
	s_wait_kmcnt 0x0
	s_and_b32 s8, s0, 0xffff
	s_cvt_u32_f32 s11, s1
	s_mov_b32 s1, 0
	s_delay_alu instid0(SALU_CYCLE_2) | instskip(NEXT) | instid1(SALU_CYCLE_1)
	s_mul_i32 s12, s12, s11
	s_mul_hi_u32 s12, s11, s12
	s_delay_alu instid0(SALU_CYCLE_1)
	s_add_co_i32 s0, s11, s12
	s_mov_b32 s11, s1
.LBB1_5:                                ; =>This Inner Loop Header: Depth=1
	v_sub_nc_u32_e32 v1, 0, v0
	s_delay_alu instid0(VALU_DEP_1) | instskip(NEXT) | instid1(VALU_DEP_1)
	v_max_i32_e32 v2, v0, v1
	v_mul_u64_e32 v[4:5], s[0:1], v[2:3]
	s_delay_alu instid0(VALU_DEP_1) | instskip(SKIP_1) | instid1(VALU_DEP_2)
	v_mul_lo_u32 v1, v5, s2
	v_add_nc_u32_e32 v4, 1, v5
	v_sub_nc_u32_e32 v1, v2, v1
	s_delay_alu instid0(VALU_DEP_1) | instskip(NEXT) | instid1(VALU_DEP_3)
	v_cmp_le_u32_e32 vcc_lo, s2, v1
	v_cndmask_b32_e32 v4, v5, v4, vcc_lo
	v_ashrrev_i32_e32 v5, 31, v0
	v_subrev_nc_u32_e32 v2, s2, v1
	s_delay_alu instid0(VALU_DEP_1) | instskip(NEXT) | instid1(VALU_DEP_1)
	v_dual_cndmask_b32 v1, v1, v2 :: v_dual_add_nc_u32 v2, 1, v4
	v_cmp_le_u32_e32 vcc_lo, s2, v1
	s_delay_alu instid0(VALU_DEP_2) | instskip(NEXT) | instid1(VALU_DEP_1)
	v_dual_cndmask_b32 v1, v4, v2, vcc_lo :: v_dual_bitop2_b32 v5, s4, v5 bitop3:0x14
	v_xor_b32_e32 v1, v1, v5
	s_delay_alu instid0(VALU_DEP_1) | instskip(NEXT) | instid1(VALU_DEP_1)
	v_sub_nc_u32_e32 v1, v1, v5
	v_mad_u32 v2, s5, v1, v0
	v_lshlrev_b32_e32 v1, 2, v1
	s_delay_alu instid0(VALU_DEP_2) | instskip(NEXT) | instid1(VALU_DEP_1)
	v_mul_lo_u32 v2, v2, s9
	v_lshl_add_u32 v1, v2, 2, v1
	v_dual_add_nc_u32 v2, s10, v0 :: v_dual_add_nc_u32 v0, s8, v0
	ds_load_b32 v1, v1
	v_cmp_le_i32_e32 vcc_lo, s3, v0
	s_or_b32 s11, vcc_lo, s11
	s_wait_dscnt 0x0
	global_store_b32 v2, v1, s[6:7] scale_offset
	s_wait_xcnt 0x0
	s_and_not1_b32 exec_lo, exec_lo, s11
	s_cbranch_execnz .LBB1_5
.LBB1_6:
	s_endpgm
	.section	.rodata,"a",@progbits
	.p2align	6, 0x0
	.amdhsa_kernel _Z24ChannelShuffleNHWCKernelIfLi128EEviiPKT_PS0_
		.amdhsa_group_segment_fixed_size 512
		.amdhsa_private_segment_fixed_size 0
		.amdhsa_kernarg_size 280
		.amdhsa_user_sgpr_count 2
		.amdhsa_user_sgpr_dispatch_ptr 0
		.amdhsa_user_sgpr_queue_ptr 0
		.amdhsa_user_sgpr_kernarg_segment_ptr 1
		.amdhsa_user_sgpr_dispatch_id 0
		.amdhsa_user_sgpr_kernarg_preload_length 0
		.amdhsa_user_sgpr_kernarg_preload_offset 0
		.amdhsa_user_sgpr_private_segment_size 0
		.amdhsa_wavefront_size32 1
		.amdhsa_uses_dynamic_stack 0
		.amdhsa_enable_private_segment 0
		.amdhsa_system_sgpr_workgroup_id_x 1
		.amdhsa_system_sgpr_workgroup_id_y 0
		.amdhsa_system_sgpr_workgroup_id_z 0
		.amdhsa_system_sgpr_workgroup_info 0
		.amdhsa_system_vgpr_workitem_id 0
		.amdhsa_next_free_vgpr 6
		.amdhsa_next_free_sgpr 16
		.amdhsa_named_barrier_count 0
		.amdhsa_reserve_vcc 1
		.amdhsa_float_round_mode_32 0
		.amdhsa_float_round_mode_16_64 0
		.amdhsa_float_denorm_mode_32 3
		.amdhsa_float_denorm_mode_16_64 3
		.amdhsa_fp16_overflow 0
		.amdhsa_memory_ordered 1
		.amdhsa_forward_progress 1
		.amdhsa_inst_pref_size 5
		.amdhsa_round_robin_scheduling 0
		.amdhsa_exception_fp_ieee_invalid_op 0
		.amdhsa_exception_fp_denorm_src 0
		.amdhsa_exception_fp_ieee_div_zero 0
		.amdhsa_exception_fp_ieee_overflow 0
		.amdhsa_exception_fp_ieee_underflow 0
		.amdhsa_exception_fp_ieee_inexact 0
		.amdhsa_exception_int_div_zero 0
	.end_amdhsa_kernel
	.section	.text._Z24ChannelShuffleNHWCKernelIfLi128EEviiPKT_PS0_,"axG",@progbits,_Z24ChannelShuffleNHWCKernelIfLi128EEviiPKT_PS0_,comdat
.Lfunc_end1:
	.size	_Z24ChannelShuffleNHWCKernelIfLi128EEviiPKT_PS0_, .Lfunc_end1-_Z24ChannelShuffleNHWCKernelIfLi128EEviiPKT_PS0_
                                        ; -- End function
	.set _Z24ChannelShuffleNHWCKernelIfLi128EEviiPKT_PS0_.num_vgpr, 6
	.set _Z24ChannelShuffleNHWCKernelIfLi128EEviiPKT_PS0_.num_agpr, 0
	.set _Z24ChannelShuffleNHWCKernelIfLi128EEviiPKT_PS0_.numbered_sgpr, 16
	.set _Z24ChannelShuffleNHWCKernelIfLi128EEviiPKT_PS0_.num_named_barrier, 0
	.set _Z24ChannelShuffleNHWCKernelIfLi128EEviiPKT_PS0_.private_seg_size, 0
	.set _Z24ChannelShuffleNHWCKernelIfLi128EEviiPKT_PS0_.uses_vcc, 1
	.set _Z24ChannelShuffleNHWCKernelIfLi128EEviiPKT_PS0_.uses_flat_scratch, 0
	.set _Z24ChannelShuffleNHWCKernelIfLi128EEviiPKT_PS0_.has_dyn_sized_stack, 0
	.set _Z24ChannelShuffleNHWCKernelIfLi128EEviiPKT_PS0_.has_recursion, 0
	.set _Z24ChannelShuffleNHWCKernelIfLi128EEviiPKT_PS0_.has_indirect_call, 0
	.section	.AMDGPU.csdata,"",@progbits
; Kernel info:
; codeLenInByte = 516
; TotalNumSgprs: 18
; NumVgprs: 6
; ScratchSize: 0
; MemoryBound: 0
; FloatMode: 240
; IeeeMode: 1
; LDSByteSize: 512 bytes/workgroup (compile time only)
; SGPRBlocks: 0
; VGPRBlocks: 0
; NumSGPRsForWavesPerEU: 18
; NumVGPRsForWavesPerEU: 6
; NamedBarCnt: 0
; Occupancy: 16
; WaveLimiterHint : 0
; COMPUTE_PGM_RSRC2:SCRATCH_EN: 0
; COMPUTE_PGM_RSRC2:USER_SGPR: 2
; COMPUTE_PGM_RSRC2:TRAP_HANDLER: 0
; COMPUTE_PGM_RSRC2:TGID_X_EN: 1
; COMPUTE_PGM_RSRC2:TGID_Y_EN: 0
; COMPUTE_PGM_RSRC2:TGID_Z_EN: 0
; COMPUTE_PGM_RSRC2:TIDIG_COMP_CNT: 0
	.section	.text._Z24ChannelShuffleNHWCKernelIfLi512EEviiPKT_PS0_,"axG",@progbits,_Z24ChannelShuffleNHWCKernelIfLi512EEviiPKT_PS0_,comdat
	.protected	_Z24ChannelShuffleNHWCKernelIfLi512EEviiPKT_PS0_ ; -- Begin function _Z24ChannelShuffleNHWCKernelIfLi512EEviiPKT_PS0_
	.globl	_Z24ChannelShuffleNHWCKernelIfLi512EEviiPKT_PS0_
	.p2align	8
	.type	_Z24ChannelShuffleNHWCKernelIfLi512EEviiPKT_PS0_,@function
_Z24ChannelShuffleNHWCKernelIfLi512EEviiPKT_PS0_: ; @_Z24ChannelShuffleNHWCKernelIfLi512EEviiPKT_PS0_
; %bb.0:
	s_clause 0x1
	s_load_b64 s[8:9], s[0:1], 0x0
	s_load_b128 s[4:7], s[0:1], 0x8
	s_bfe_u32 s2, ttmp6, 0x4000c
	s_and_b32 s10, ttmp6, 15
	s_add_co_i32 s2, s2, 1
	s_getreg_b32 s11, hwreg(HW_REG_IB_STS2, 6, 4)
	s_mul_i32 s2, ttmp9, s2
	s_mov_b32 s12, 0
	s_add_co_i32 s10, s10, s2
	s_cmp_eq_u32 s11, 0
	s_cselect_b32 s2, ttmp9, s10
	s_wait_kmcnt 0x0
	s_mul_i32 s3, s9, s8
	s_delay_alu instid0(SALU_CYCLE_1)
	v_cmp_gt_i32_e32 vcc_lo, s3, v0
	s_mul_i32 s10, s3, s2
	s_and_saveexec_b32 s13, vcc_lo
	s_cbranch_execz .LBB2_3
; %bb.1:
	s_load_b32 s2, s[0:1], 0x24
	s_ashr_i32 s11, s10, 31
	v_dual_mov_b32 v2, v0 :: v_dual_lshlrev_b32 v1, 2, v0
	s_lshl_b64 s[14:15], s[10:11], 2
	s_delay_alu instid0(SALU_CYCLE_1) | instskip(SKIP_2) | instid1(SALU_CYCLE_1)
	s_add_nc_u64 s[4:5], s[4:5], s[14:15]
	s_wait_kmcnt 0x0
	s_and_b32 s11, s2, 0xffff
	s_lshl_b32 s14, s11, 2
.LBB2_2:                                ; =>This Inner Loop Header: Depth=1
	global_load_b32 v3, v2, s[4:5] scale_offset
	s_wait_xcnt 0x0
	v_add_nc_u32_e32 v2, s11, v2
	s_wait_loadcnt 0x0
	ds_store_b32 v1, v3
	v_add_nc_u32_e32 v1, s14, v1
	v_cmp_le_i32_e64 s2, s3, v2
	s_or_b32 s12, s2, s12
	s_delay_alu instid0(SALU_CYCLE_1)
	s_and_not1_b32 exec_lo, exec_lo, s12
	s_cbranch_execnz .LBB2_2
.LBB2_3:
	s_or_b32 exec_lo, exec_lo, s13
	s_wait_dscnt 0x0
	s_barrier_signal -1
	s_barrier_wait -1
	s_and_saveexec_b32 s2, vcc_lo
	s_cbranch_execz .LBB2_6
; %bb.4:
	s_abs_i32 s2, s8
	s_load_b32 s0, s[0:1], 0x24
	s_cvt_f32_u32 s4, s2
	s_sub_co_i32 s12, 0, s2
	v_mov_b32_e32 v3, 0
	s_sub_co_i32 s5, 0, s8
	v_rcp_iflag_f32_e32 v1, s4
	s_ashr_i32 s4, s8, 31
	s_wait_xcnt 0x0
	v_nop
	s_delay_alu instid0(TRANS32_DEP_1) | instskip(SKIP_3) | instid1(SALU_CYCLE_1)
	v_readfirstlane_b32 s1, v1
	s_mul_f32 s1, s1, 0x4f7ffffe
	s_wait_kmcnt 0x0
	s_and_b32 s8, s0, 0xffff
	s_cvt_u32_f32 s11, s1
	s_mov_b32 s1, 0
	s_delay_alu instid0(SALU_CYCLE_2) | instskip(NEXT) | instid1(SALU_CYCLE_1)
	s_mul_i32 s12, s12, s11
	s_mul_hi_u32 s12, s11, s12
	s_delay_alu instid0(SALU_CYCLE_1)
	s_add_co_i32 s0, s11, s12
	s_mov_b32 s11, s1
.LBB2_5:                                ; =>This Inner Loop Header: Depth=1
	v_sub_nc_u32_e32 v1, 0, v0
	s_delay_alu instid0(VALU_DEP_1) | instskip(NEXT) | instid1(VALU_DEP_1)
	v_max_i32_e32 v2, v0, v1
	v_mul_u64_e32 v[4:5], s[0:1], v[2:3]
	s_delay_alu instid0(VALU_DEP_1) | instskip(SKIP_1) | instid1(VALU_DEP_2)
	v_mul_lo_u32 v1, v5, s2
	v_add_nc_u32_e32 v4, 1, v5
	v_sub_nc_u32_e32 v1, v2, v1
	s_delay_alu instid0(VALU_DEP_1) | instskip(NEXT) | instid1(VALU_DEP_3)
	v_cmp_le_u32_e32 vcc_lo, s2, v1
	v_cndmask_b32_e32 v4, v5, v4, vcc_lo
	v_ashrrev_i32_e32 v5, 31, v0
	v_subrev_nc_u32_e32 v2, s2, v1
	s_delay_alu instid0(VALU_DEP_1) | instskip(NEXT) | instid1(VALU_DEP_1)
	v_dual_cndmask_b32 v1, v1, v2 :: v_dual_add_nc_u32 v2, 1, v4
	v_cmp_le_u32_e32 vcc_lo, s2, v1
	s_delay_alu instid0(VALU_DEP_2) | instskip(NEXT) | instid1(VALU_DEP_1)
	v_dual_cndmask_b32 v1, v4, v2, vcc_lo :: v_dual_bitop2_b32 v5, s4, v5 bitop3:0x14
	v_xor_b32_e32 v1, v1, v5
	s_delay_alu instid0(VALU_DEP_1) | instskip(NEXT) | instid1(VALU_DEP_1)
	v_sub_nc_u32_e32 v1, v1, v5
	v_mad_u32 v2, s5, v1, v0
	v_lshlrev_b32_e32 v1, 2, v1
	s_delay_alu instid0(VALU_DEP_2) | instskip(NEXT) | instid1(VALU_DEP_1)
	v_mul_lo_u32 v2, v2, s9
	v_lshl_add_u32 v1, v2, 2, v1
	v_dual_add_nc_u32 v2, s10, v0 :: v_dual_add_nc_u32 v0, s8, v0
	ds_load_b32 v1, v1
	v_cmp_le_i32_e32 vcc_lo, s3, v0
	s_or_b32 s11, vcc_lo, s11
	s_wait_dscnt 0x0
	global_store_b32 v2, v1, s[6:7] scale_offset
	s_wait_xcnt 0x0
	s_and_not1_b32 exec_lo, exec_lo, s11
	s_cbranch_execnz .LBB2_5
.LBB2_6:
	s_endpgm
	.section	.rodata,"a",@progbits
	.p2align	6, 0x0
	.amdhsa_kernel _Z24ChannelShuffleNHWCKernelIfLi512EEviiPKT_PS0_
		.amdhsa_group_segment_fixed_size 2048
		.amdhsa_private_segment_fixed_size 0
		.amdhsa_kernarg_size 280
		.amdhsa_user_sgpr_count 2
		.amdhsa_user_sgpr_dispatch_ptr 0
		.amdhsa_user_sgpr_queue_ptr 0
		.amdhsa_user_sgpr_kernarg_segment_ptr 1
		.amdhsa_user_sgpr_dispatch_id 0
		.amdhsa_user_sgpr_kernarg_preload_length 0
		.amdhsa_user_sgpr_kernarg_preload_offset 0
		.amdhsa_user_sgpr_private_segment_size 0
		.amdhsa_wavefront_size32 1
		.amdhsa_uses_dynamic_stack 0
		.amdhsa_enable_private_segment 0
		.amdhsa_system_sgpr_workgroup_id_x 1
		.amdhsa_system_sgpr_workgroup_id_y 0
		.amdhsa_system_sgpr_workgroup_id_z 0
		.amdhsa_system_sgpr_workgroup_info 0
		.amdhsa_system_vgpr_workitem_id 0
		.amdhsa_next_free_vgpr 6
		.amdhsa_next_free_sgpr 16
		.amdhsa_named_barrier_count 0
		.amdhsa_reserve_vcc 1
		.amdhsa_float_round_mode_32 0
		.amdhsa_float_round_mode_16_64 0
		.amdhsa_float_denorm_mode_32 3
		.amdhsa_float_denorm_mode_16_64 3
		.amdhsa_fp16_overflow 0
		.amdhsa_memory_ordered 1
		.amdhsa_forward_progress 1
		.amdhsa_inst_pref_size 5
		.amdhsa_round_robin_scheduling 0
		.amdhsa_exception_fp_ieee_invalid_op 0
		.amdhsa_exception_fp_denorm_src 0
		.amdhsa_exception_fp_ieee_div_zero 0
		.amdhsa_exception_fp_ieee_overflow 0
		.amdhsa_exception_fp_ieee_underflow 0
		.amdhsa_exception_fp_ieee_inexact 0
		.amdhsa_exception_int_div_zero 0
	.end_amdhsa_kernel
	.section	.text._Z24ChannelShuffleNHWCKernelIfLi512EEviiPKT_PS0_,"axG",@progbits,_Z24ChannelShuffleNHWCKernelIfLi512EEviiPKT_PS0_,comdat
.Lfunc_end2:
	.size	_Z24ChannelShuffleNHWCKernelIfLi512EEviiPKT_PS0_, .Lfunc_end2-_Z24ChannelShuffleNHWCKernelIfLi512EEviiPKT_PS0_
                                        ; -- End function
	.set _Z24ChannelShuffleNHWCKernelIfLi512EEviiPKT_PS0_.num_vgpr, 6
	.set _Z24ChannelShuffleNHWCKernelIfLi512EEviiPKT_PS0_.num_agpr, 0
	.set _Z24ChannelShuffleNHWCKernelIfLi512EEviiPKT_PS0_.numbered_sgpr, 16
	.set _Z24ChannelShuffleNHWCKernelIfLi512EEviiPKT_PS0_.num_named_barrier, 0
	.set _Z24ChannelShuffleNHWCKernelIfLi512EEviiPKT_PS0_.private_seg_size, 0
	.set _Z24ChannelShuffleNHWCKernelIfLi512EEviiPKT_PS0_.uses_vcc, 1
	.set _Z24ChannelShuffleNHWCKernelIfLi512EEviiPKT_PS0_.uses_flat_scratch, 0
	.set _Z24ChannelShuffleNHWCKernelIfLi512EEviiPKT_PS0_.has_dyn_sized_stack, 0
	.set _Z24ChannelShuffleNHWCKernelIfLi512EEviiPKT_PS0_.has_recursion, 0
	.set _Z24ChannelShuffleNHWCKernelIfLi512EEviiPKT_PS0_.has_indirect_call, 0
	.section	.AMDGPU.csdata,"",@progbits
; Kernel info:
; codeLenInByte = 516
; TotalNumSgprs: 18
; NumVgprs: 6
; ScratchSize: 0
; MemoryBound: 0
; FloatMode: 240
; IeeeMode: 1
; LDSByteSize: 2048 bytes/workgroup (compile time only)
; SGPRBlocks: 0
; VGPRBlocks: 0
; NumSGPRsForWavesPerEU: 18
; NumVGPRsForWavesPerEU: 6
; NamedBarCnt: 0
; Occupancy: 16
; WaveLimiterHint : 0
; COMPUTE_PGM_RSRC2:SCRATCH_EN: 0
; COMPUTE_PGM_RSRC2:USER_SGPR: 2
; COMPUTE_PGM_RSRC2:TRAP_HANDLER: 0
; COMPUTE_PGM_RSRC2:TGID_X_EN: 1
; COMPUTE_PGM_RSRC2:TGID_Y_EN: 0
; COMPUTE_PGM_RSRC2:TGID_Z_EN: 0
; COMPUTE_PGM_RSRC2:TIDIG_COMP_CNT: 0
	.section	.text._Z24ChannelShuffleNCHWKernelIfLb0EEviiiPKT_PS0_,"axG",@progbits,_Z24ChannelShuffleNCHWKernelIfLb0EEviiiPKT_PS0_,comdat
	.protected	_Z24ChannelShuffleNCHWKernelIfLb0EEviiiPKT_PS0_ ; -- Begin function _Z24ChannelShuffleNCHWKernelIfLb0EEviiiPKT_PS0_
	.globl	_Z24ChannelShuffleNCHWKernelIfLb0EEviiiPKT_PS0_
	.p2align	8
	.type	_Z24ChannelShuffleNCHWKernelIfLb0EEviiiPKT_PS0_,@function
_Z24ChannelShuffleNCHWKernelIfLb0EEviiiPKT_PS0_: ; @_Z24ChannelShuffleNCHWKernelIfLb0EEviiiPKT_PS0_
; %bb.0:
	s_load_b96 s[4:6], s[0:1], 0x0
	s_bfe_u32 s2, ttmp6, 0x4000c
	s_and_b32 s3, ttmp6, 15
	s_add_co_i32 s2, s2, 1
	s_delay_alu instid0(SALU_CYCLE_1) | instskip(SKIP_4) | instid1(SALU_CYCLE_1)
	s_mul_i32 s7, ttmp9, s2
	s_getreg_b32 s2, hwreg(HW_REG_IB_STS2, 6, 4)
	s_add_co_i32 s3, s3, s7
	s_cmp_eq_u32 s2, 0
	s_cselect_b32 s3, ttmp9, s3
	v_lshl_add_u32 v0, s3, 8, v0
	s_mov_b32 s3, exec_lo
	s_wait_kmcnt 0x0
	s_delay_alu instid0(VALU_DEP_1)
	v_cmpx_gt_i32_e64 s6, v0
	s_cbranch_execz .LBB3_2
; %bb.1:
	s_cvt_f32_u32 s3, s4
	s_bfe_u32 s9, ttmp6, 0x40010
	s_bfe_u32 s12, ttmp6, 0x40014
	s_and_b32 s8, ttmp7, 0xffff
	v_rcp_iflag_f32_e32 v1, s3
	s_sub_co_i32 s3, 0, s4
	s_lshr_b32 s11, ttmp7, 16
	s_add_co_i32 s9, s9, 1
	s_add_co_i32 s12, s12, 1
	s_bfe_u32 s10, ttmp6, 0x40004
	s_bfe_u32 s13, ttmp6, 0x40008
	v_nop
	v_readfirstlane_b32 s7, v1
	s_mul_i32 s9, s8, s9
	s_mul_i32 s12, s11, s12
	s_add_co_i32 s10, s10, s9
	s_add_co_i32 s13, s13, s12
	s_mul_f32 s7, s7, 0x4f7ffffe
	s_delay_alu instid0(SALU_CYCLE_3) | instskip(NEXT) | instid1(SALU_CYCLE_3)
	s_cvt_u32_f32 s7, s7
	s_mul_i32 s3, s3, s7
	s_delay_alu instid0(SALU_CYCLE_1) | instskip(NEXT) | instid1(SALU_CYCLE_1)
	s_mul_hi_u32 s3, s7, s3
	s_add_co_i32 s7, s7, s3
	s_cmp_eq_u32 s2, 0
	s_cselect_b32 s9, s11, s13
	s_cselect_b32 s8, s8, s10
	s_mul_hi_u32 s7, s9, s7
	s_delay_alu instid0(SALU_CYCLE_1)
	s_mul_i32 s2, s7, s4
	s_add_co_i32 s11, s7, 1
	s_sub_co_i32 s10, s9, s2
	s_load_b128 s[0:3], s[0:1], 0x10
	s_sub_co_i32 s12, s10, s4
	s_cmp_ge_u32 s10, s4
	s_cselect_b32 s7, s11, s7
	s_cselect_b32 s10, s12, s10
	s_add_co_i32 s11, s7, 1
	s_cmp_ge_u32 s10, s4
	s_cselect_b32 s7, s11, s7
	s_delay_alu instid0(SALU_CYCLE_1)
	s_mul_i32 s10, s7, s4
	s_mul_i32 s4, s4, s8
	s_sub_co_i32 s8, s9, s10
	s_mul_i32 s10, s4, s5
	s_mul_i32 s8, s8, s5
	s_add_co_i32 s4, s7, s10
	s_add_co_i32 s10, s10, s9
	;; [unrolled: 1-line block ×3, first 2 shown]
	s_delay_alu instid0(SALU_CYCLE_1) | instskip(NEXT) | instid1(SALU_CYCLE_1)
	s_mul_i32 s4, s4, s6
	s_ashr_i32 s5, s4, 31
	s_delay_alu instid0(SALU_CYCLE_1)
	s_lshl_b64 s[4:5], s[4:5], 2
	s_wait_kmcnt 0x0
	s_add_nc_u64 s[0:1], s[0:1], s[4:5]
	global_load_b32 v1, v0, s[0:1] scale_offset
	s_wait_xcnt 0x0
	v_mad_u32 v0, s10, s6, v0
	s_wait_loadcnt 0x0
	global_store_b32 v0, v1, s[2:3] scale_offset
.LBB3_2:
	s_endpgm
	.section	.rodata,"a",@progbits
	.p2align	6, 0x0
	.amdhsa_kernel _Z24ChannelShuffleNCHWKernelIfLb0EEviiiPKT_PS0_
		.amdhsa_group_segment_fixed_size 0
		.amdhsa_private_segment_fixed_size 0
		.amdhsa_kernarg_size 32
		.amdhsa_user_sgpr_count 2
		.amdhsa_user_sgpr_dispatch_ptr 0
		.amdhsa_user_sgpr_queue_ptr 0
		.amdhsa_user_sgpr_kernarg_segment_ptr 1
		.amdhsa_user_sgpr_dispatch_id 0
		.amdhsa_user_sgpr_kernarg_preload_length 0
		.amdhsa_user_sgpr_kernarg_preload_offset 0
		.amdhsa_user_sgpr_private_segment_size 0
		.amdhsa_wavefront_size32 1
		.amdhsa_uses_dynamic_stack 0
		.amdhsa_enable_private_segment 0
		.amdhsa_system_sgpr_workgroup_id_x 1
		.amdhsa_system_sgpr_workgroup_id_y 1
		.amdhsa_system_sgpr_workgroup_id_z 1
		.amdhsa_system_sgpr_workgroup_info 0
		.amdhsa_system_vgpr_workitem_id 0
		.amdhsa_next_free_vgpr 2
		.amdhsa_next_free_sgpr 14
		.amdhsa_named_barrier_count 0
		.amdhsa_reserve_vcc 0
		.amdhsa_float_round_mode_32 0
		.amdhsa_float_round_mode_16_64 0
		.amdhsa_float_denorm_mode_32 3
		.amdhsa_float_denorm_mode_16_64 3
		.amdhsa_fp16_overflow 0
		.amdhsa_memory_ordered 1
		.amdhsa_forward_progress 1
		.amdhsa_inst_pref_size 3
		.amdhsa_round_robin_scheduling 0
		.amdhsa_exception_fp_ieee_invalid_op 0
		.amdhsa_exception_fp_denorm_src 0
		.amdhsa_exception_fp_ieee_div_zero 0
		.amdhsa_exception_fp_ieee_overflow 0
		.amdhsa_exception_fp_ieee_underflow 0
		.amdhsa_exception_fp_ieee_inexact 0
		.amdhsa_exception_int_div_zero 0
	.end_amdhsa_kernel
	.section	.text._Z24ChannelShuffleNCHWKernelIfLb0EEviiiPKT_PS0_,"axG",@progbits,_Z24ChannelShuffleNCHWKernelIfLb0EEviiiPKT_PS0_,comdat
.Lfunc_end3:
	.size	_Z24ChannelShuffleNCHWKernelIfLb0EEviiiPKT_PS0_, .Lfunc_end3-_Z24ChannelShuffleNCHWKernelIfLb0EEviiiPKT_PS0_
                                        ; -- End function
	.set _Z24ChannelShuffleNCHWKernelIfLb0EEviiiPKT_PS0_.num_vgpr, 2
	.set _Z24ChannelShuffleNCHWKernelIfLb0EEviiiPKT_PS0_.num_agpr, 0
	.set _Z24ChannelShuffleNCHWKernelIfLb0EEviiiPKT_PS0_.numbered_sgpr, 14
	.set _Z24ChannelShuffleNCHWKernelIfLb0EEviiiPKT_PS0_.num_named_barrier, 0
	.set _Z24ChannelShuffleNCHWKernelIfLb0EEviiiPKT_PS0_.private_seg_size, 0
	.set _Z24ChannelShuffleNCHWKernelIfLb0EEviiiPKT_PS0_.uses_vcc, 0
	.set _Z24ChannelShuffleNCHWKernelIfLb0EEviiiPKT_PS0_.uses_flat_scratch, 0
	.set _Z24ChannelShuffleNCHWKernelIfLb0EEviiiPKT_PS0_.has_dyn_sized_stack, 0
	.set _Z24ChannelShuffleNCHWKernelIfLb0EEviiiPKT_PS0_.has_recursion, 0
	.set _Z24ChannelShuffleNCHWKernelIfLb0EEviiiPKT_PS0_.has_indirect_call, 0
	.section	.AMDGPU.csdata,"",@progbits
; Kernel info:
; codeLenInByte = 376
; TotalNumSgprs: 14
; NumVgprs: 2
; ScratchSize: 0
; MemoryBound: 0
; FloatMode: 240
; IeeeMode: 1
; LDSByteSize: 0 bytes/workgroup (compile time only)
; SGPRBlocks: 0
; VGPRBlocks: 0
; NumSGPRsForWavesPerEU: 14
; NumVGPRsForWavesPerEU: 2
; NamedBarCnt: 0
; Occupancy: 16
; WaveLimiterHint : 0
; COMPUTE_PGM_RSRC2:SCRATCH_EN: 0
; COMPUTE_PGM_RSRC2:USER_SGPR: 2
; COMPUTE_PGM_RSRC2:TRAP_HANDLER: 0
; COMPUTE_PGM_RSRC2:TGID_X_EN: 1
; COMPUTE_PGM_RSRC2:TGID_Y_EN: 1
; COMPUTE_PGM_RSRC2:TGID_Z_EN: 1
; COMPUTE_PGM_RSRC2:TIDIG_COMP_CNT: 0
	.section	.text._Z24ChannelShuffleNCHWKernelIfLb1EEviiiPKT_PS0_,"axG",@progbits,_Z24ChannelShuffleNCHWKernelIfLb1EEviiiPKT_PS0_,comdat
	.protected	_Z24ChannelShuffleNCHWKernelIfLb1EEviiiPKT_PS0_ ; -- Begin function _Z24ChannelShuffleNCHWKernelIfLb1EEviiiPKT_PS0_
	.globl	_Z24ChannelShuffleNCHWKernelIfLb1EEviiiPKT_PS0_
	.p2align	8
	.type	_Z24ChannelShuffleNCHWKernelIfLb1EEviiiPKT_PS0_,@function
_Z24ChannelShuffleNCHWKernelIfLb1EEviiiPKT_PS0_: ; @_Z24ChannelShuffleNCHWKernelIfLb1EEviiiPKT_PS0_
; %bb.0:
	s_load_b96 s[4:6], s[0:1], 0x0
	s_bfe_u32 s2, ttmp6, 0x40010
	s_and_b32 s3, ttmp7, 0xffff
	s_add_co_i32 s2, s2, 1
	s_bfe_u32 s8, ttmp6, 0x40004
	s_mul_i32 s7, s3, s2
	s_getreg_b32 s2, hwreg(HW_REG_IB_STS2, 6, 4)
	s_add_co_i32 s8, s8, s7
	s_cmp_eq_u32 s2, 0
	s_cselect_b32 s3, s3, s8
	s_delay_alu instid0(SALU_CYCLE_1) | instskip(SKIP_2) | instid1(VALU_DEP_1)
	v_lshl_add_u32 v0, s3, 8, v0
	s_mov_b32 s3, exec_lo
	s_wait_kmcnt 0x0
	v_cmpx_gt_i32_e64 s6, v0
	s_cbranch_execz .LBB4_2
; %bb.1:
	s_cvt_f32_u32 s3, s4
	s_sub_co_i32 s7, 0, s4
	s_bfe_u32 s9, ttmp6, 0x4000c
	s_bfe_u32 s11, ttmp6, 0x40014
	v_rcp_iflag_f32_e32 v1, s3
	s_lshr_b32 s10, ttmp7, 16
	s_add_co_i32 s9, s9, 1
	s_add_co_i32 s11, s11, 1
	s_and_b32 s8, ttmp6, 15
	s_bfe_u32 s12, ttmp6, 0x40008
	s_mul_i32 s9, ttmp9, s9
	v_nop
	v_readfirstlane_b32 s3, v1
	s_mul_i32 s11, s10, s11
	s_add_co_i32 s8, s8, s9
	s_add_co_i32 s12, s12, s11
	s_mul_f32 s3, s3, 0x4f7ffffe
	s_delay_alu instid0(SALU_CYCLE_3) | instskip(NEXT) | instid1(SALU_CYCLE_3)
	s_cvt_u32_f32 s3, s3
	s_mul_i32 s7, s7, s3
	s_delay_alu instid0(SALU_CYCLE_1) | instskip(NEXT) | instid1(SALU_CYCLE_1)
	s_mul_hi_u32 s7, s3, s7
	s_add_co_i32 s3, s3, s7
	s_cmp_eq_u32 s2, 0
	s_cselect_b32 s7, s10, s12
	s_cselect_b32 s8, ttmp9, s8
	s_mul_hi_u32 s9, s7, s3
	s_delay_alu instid0(SALU_CYCLE_1)
	s_mul_i32 s2, s9, s4
	s_add_co_i32 s11, s9, 1
	s_sub_co_i32 s10, s7, s2
	s_load_b128 s[0:3], s[0:1], 0x10
	s_sub_co_i32 s12, s10, s4
	s_cmp_ge_u32 s10, s4
	s_cselect_b32 s9, s11, s9
	s_cselect_b32 s10, s12, s10
	s_add_co_i32 s11, s9, 1
	s_cmp_ge_u32 s10, s4
	s_cselect_b32 s9, s11, s9
	s_delay_alu instid0(SALU_CYCLE_1)
	s_mul_i32 s10, s9, s4
	s_mul_i32 s4, s4, s8
	s_sub_co_i32 s8, s7, s10
	s_mul_i32 s10, s4, s5
	s_mul_i32 s8, s8, s5
	s_add_co_i32 s4, s9, s10
	s_add_co_i32 s10, s10, s7
	s_add_co_i32 s4, s4, s8
	s_delay_alu instid0(SALU_CYCLE_1) | instskip(NEXT) | instid1(SALU_CYCLE_1)
	s_mul_i32 s4, s4, s6
	s_ashr_i32 s5, s4, 31
	s_delay_alu instid0(SALU_CYCLE_1)
	s_lshl_b64 s[4:5], s[4:5], 2
	s_wait_kmcnt 0x0
	s_add_nc_u64 s[0:1], s[0:1], s[4:5]
	global_load_b32 v1, v0, s[0:1] scale_offset
	s_wait_xcnt 0x0
	v_mad_u32 v0, s10, s6, v0
	s_wait_loadcnt 0x0
	global_store_b32 v0, v1, s[2:3] scale_offset
.LBB4_2:
	s_endpgm
	.section	.rodata,"a",@progbits
	.p2align	6, 0x0
	.amdhsa_kernel _Z24ChannelShuffleNCHWKernelIfLb1EEviiiPKT_PS0_
		.amdhsa_group_segment_fixed_size 0
		.amdhsa_private_segment_fixed_size 0
		.amdhsa_kernarg_size 32
		.amdhsa_user_sgpr_count 2
		.amdhsa_user_sgpr_dispatch_ptr 0
		.amdhsa_user_sgpr_queue_ptr 0
		.amdhsa_user_sgpr_kernarg_segment_ptr 1
		.amdhsa_user_sgpr_dispatch_id 0
		.amdhsa_user_sgpr_kernarg_preload_length 0
		.amdhsa_user_sgpr_kernarg_preload_offset 0
		.amdhsa_user_sgpr_private_segment_size 0
		.amdhsa_wavefront_size32 1
		.amdhsa_uses_dynamic_stack 0
		.amdhsa_enable_private_segment 0
		.amdhsa_system_sgpr_workgroup_id_x 1
		.amdhsa_system_sgpr_workgroup_id_y 1
		.amdhsa_system_sgpr_workgroup_id_z 1
		.amdhsa_system_sgpr_workgroup_info 0
		.amdhsa_system_vgpr_workitem_id 0
		.amdhsa_next_free_vgpr 2
		.amdhsa_next_free_sgpr 13
		.amdhsa_named_barrier_count 0
		.amdhsa_reserve_vcc 0
		.amdhsa_float_round_mode_32 0
		.amdhsa_float_round_mode_16_64 0
		.amdhsa_float_denorm_mode_32 3
		.amdhsa_float_denorm_mode_16_64 3
		.amdhsa_fp16_overflow 0
		.amdhsa_memory_ordered 1
		.amdhsa_forward_progress 1
		.amdhsa_inst_pref_size 3
		.amdhsa_round_robin_scheduling 0
		.amdhsa_exception_fp_ieee_invalid_op 0
		.amdhsa_exception_fp_denorm_src 0
		.amdhsa_exception_fp_ieee_div_zero 0
		.amdhsa_exception_fp_ieee_overflow 0
		.amdhsa_exception_fp_ieee_underflow 0
		.amdhsa_exception_fp_ieee_inexact 0
		.amdhsa_exception_int_div_zero 0
	.end_amdhsa_kernel
	.section	.text._Z24ChannelShuffleNCHWKernelIfLb1EEviiiPKT_PS0_,"axG",@progbits,_Z24ChannelShuffleNCHWKernelIfLb1EEviiiPKT_PS0_,comdat
.Lfunc_end4:
	.size	_Z24ChannelShuffleNCHWKernelIfLb1EEviiiPKT_PS0_, .Lfunc_end4-_Z24ChannelShuffleNCHWKernelIfLb1EEviiiPKT_PS0_
                                        ; -- End function
	.set _Z24ChannelShuffleNCHWKernelIfLb1EEviiiPKT_PS0_.num_vgpr, 2
	.set _Z24ChannelShuffleNCHWKernelIfLb1EEviiiPKT_PS0_.num_agpr, 0
	.set _Z24ChannelShuffleNCHWKernelIfLb1EEviiiPKT_PS0_.numbered_sgpr, 13
	.set _Z24ChannelShuffleNCHWKernelIfLb1EEviiiPKT_PS0_.num_named_barrier, 0
	.set _Z24ChannelShuffleNCHWKernelIfLb1EEviiiPKT_PS0_.private_seg_size, 0
	.set _Z24ChannelShuffleNCHWKernelIfLb1EEviiiPKT_PS0_.uses_vcc, 0
	.set _Z24ChannelShuffleNCHWKernelIfLb1EEviiiPKT_PS0_.uses_flat_scratch, 0
	.set _Z24ChannelShuffleNCHWKernelIfLb1EEviiiPKT_PS0_.has_dyn_sized_stack, 0
	.set _Z24ChannelShuffleNCHWKernelIfLb1EEviiiPKT_PS0_.has_recursion, 0
	.set _Z24ChannelShuffleNCHWKernelIfLb1EEviiiPKT_PS0_.has_indirect_call, 0
	.section	.AMDGPU.csdata,"",@progbits
; Kernel info:
; codeLenInByte = 372
; TotalNumSgprs: 13
; NumVgprs: 2
; ScratchSize: 0
; MemoryBound: 0
; FloatMode: 240
; IeeeMode: 1
; LDSByteSize: 0 bytes/workgroup (compile time only)
; SGPRBlocks: 0
; VGPRBlocks: 0
; NumSGPRsForWavesPerEU: 13
; NumVGPRsForWavesPerEU: 2
; NamedBarCnt: 0
; Occupancy: 16
; WaveLimiterHint : 0
; COMPUTE_PGM_RSRC2:SCRATCH_EN: 0
; COMPUTE_PGM_RSRC2:USER_SGPR: 2
; COMPUTE_PGM_RSRC2:TRAP_HANDLER: 0
; COMPUTE_PGM_RSRC2:TGID_X_EN: 1
; COMPUTE_PGM_RSRC2:TGID_Y_EN: 1
; COMPUTE_PGM_RSRC2:TGID_Z_EN: 1
; COMPUTE_PGM_RSRC2:TIDIG_COMP_CNT: 0
	.section	.AMDGPU.gpr_maximums,"",@progbits
	.set amdgpu.max_num_vgpr, 0
	.set amdgpu.max_num_agpr, 0
	.set amdgpu.max_num_sgpr, 0
	.section	.AMDGPU.csdata,"",@progbits
	.type	__hip_cuid_3fdf6c2de384a5c2,@object ; @__hip_cuid_3fdf6c2de384a5c2
	.section	.bss,"aw",@nobits
	.globl	__hip_cuid_3fdf6c2de384a5c2
__hip_cuid_3fdf6c2de384a5c2:
	.byte	0                               ; 0x0
	.size	__hip_cuid_3fdf6c2de384a5c2, 1

	.ident	"AMD clang version 22.0.0git (https://github.com/RadeonOpenCompute/llvm-project roc-7.2.4 26084 f58b06dce1f9c15707c5f808fd002e18c2accf7e)"
	.section	".note.GNU-stack","",@progbits
	.addrsig
	.addrsig_sym __hip_cuid_3fdf6c2de384a5c2
	.amdgpu_metadata
---
amdhsa.kernels:
  - .args:
      - .offset:         0
        .size:           4
        .value_kind:     by_value
      - .offset:         4
        .size:           4
        .value_kind:     by_value
      - .address_space:  global
        .offset:         8
        .size:           8
        .value_kind:     global_buffer
      - .address_space:  global
        .offset:         16
        .size:           8
        .value_kind:     global_buffer
      - .offset:         24
        .size:           4
        .value_kind:     hidden_block_count_x
      - .offset:         28
        .size:           4
        .value_kind:     hidden_block_count_y
      - .offset:         32
        .size:           4
        .value_kind:     hidden_block_count_z
      - .offset:         36
        .size:           2
        .value_kind:     hidden_group_size_x
      - .offset:         38
        .size:           2
        .value_kind:     hidden_group_size_y
      - .offset:         40
        .size:           2
        .value_kind:     hidden_group_size_z
      - .offset:         42
        .size:           2
        .value_kind:     hidden_remainder_x
      - .offset:         44
        .size:           2
        .value_kind:     hidden_remainder_y
      - .offset:         46
        .size:           2
        .value_kind:     hidden_remainder_z
      - .offset:         64
        .size:           8
        .value_kind:     hidden_global_offset_x
      - .offset:         72
        .size:           8
        .value_kind:     hidden_global_offset_y
      - .offset:         80
        .size:           8
        .value_kind:     hidden_global_offset_z
      - .offset:         88
        .size:           2
        .value_kind:     hidden_grid_dims
    .group_segment_fixed_size: 128
    .kernarg_segment_align: 8
    .kernarg_segment_size: 280
    .language:       OpenCL C
    .language_version:
      - 2
      - 0
    .max_flat_workgroup_size: 1024
    .name:           _Z24ChannelShuffleNHWCKernelIfLi32EEviiPKT_PS0_
    .private_segment_fixed_size: 0
    .sgpr_count:     18
    .sgpr_spill_count: 0
    .symbol:         _Z24ChannelShuffleNHWCKernelIfLi32EEviiPKT_PS0_.kd
    .uniform_work_group_size: 1
    .uses_dynamic_stack: false
    .vgpr_count:     6
    .vgpr_spill_count: 0
    .wavefront_size: 32
  - .args:
      - .offset:         0
        .size:           4
        .value_kind:     by_value
      - .offset:         4
        .size:           4
        .value_kind:     by_value
      - .address_space:  global
        .offset:         8
        .size:           8
        .value_kind:     global_buffer
      - .address_space:  global
        .offset:         16
        .size:           8
        .value_kind:     global_buffer
      - .offset:         24
        .size:           4
        .value_kind:     hidden_block_count_x
      - .offset:         28
        .size:           4
        .value_kind:     hidden_block_count_y
      - .offset:         32
        .size:           4
        .value_kind:     hidden_block_count_z
      - .offset:         36
        .size:           2
        .value_kind:     hidden_group_size_x
      - .offset:         38
        .size:           2
        .value_kind:     hidden_group_size_y
      - .offset:         40
        .size:           2
        .value_kind:     hidden_group_size_z
      - .offset:         42
        .size:           2
        .value_kind:     hidden_remainder_x
      - .offset:         44
        .size:           2
        .value_kind:     hidden_remainder_y
      - .offset:         46
        .size:           2
        .value_kind:     hidden_remainder_z
      - .offset:         64
        .size:           8
        .value_kind:     hidden_global_offset_x
      - .offset:         72
        .size:           8
        .value_kind:     hidden_global_offset_y
      - .offset:         80
        .size:           8
        .value_kind:     hidden_global_offset_z
      - .offset:         88
        .size:           2
        .value_kind:     hidden_grid_dims
    .group_segment_fixed_size: 512
    .kernarg_segment_align: 8
    .kernarg_segment_size: 280
    .language:       OpenCL C
    .language_version:
      - 2
      - 0
    .max_flat_workgroup_size: 1024
    .name:           _Z24ChannelShuffleNHWCKernelIfLi128EEviiPKT_PS0_
    .private_segment_fixed_size: 0
    .sgpr_count:     18
    .sgpr_spill_count: 0
    .symbol:         _Z24ChannelShuffleNHWCKernelIfLi128EEviiPKT_PS0_.kd
    .uniform_work_group_size: 1
    .uses_dynamic_stack: false
    .vgpr_count:     6
    .vgpr_spill_count: 0
    .wavefront_size: 32
  - .args:
      - .offset:         0
        .size:           4
        .value_kind:     by_value
      - .offset:         4
        .size:           4
        .value_kind:     by_value
      - .address_space:  global
        .offset:         8
        .size:           8
        .value_kind:     global_buffer
      - .address_space:  global
        .offset:         16
        .size:           8
        .value_kind:     global_buffer
      - .offset:         24
        .size:           4
        .value_kind:     hidden_block_count_x
      - .offset:         28
        .size:           4
        .value_kind:     hidden_block_count_y
      - .offset:         32
        .size:           4
        .value_kind:     hidden_block_count_z
      - .offset:         36
        .size:           2
        .value_kind:     hidden_group_size_x
      - .offset:         38
        .size:           2
        .value_kind:     hidden_group_size_y
      - .offset:         40
        .size:           2
        .value_kind:     hidden_group_size_z
      - .offset:         42
        .size:           2
        .value_kind:     hidden_remainder_x
      - .offset:         44
        .size:           2
        .value_kind:     hidden_remainder_y
      - .offset:         46
        .size:           2
        .value_kind:     hidden_remainder_z
      - .offset:         64
        .size:           8
        .value_kind:     hidden_global_offset_x
      - .offset:         72
        .size:           8
        .value_kind:     hidden_global_offset_y
      - .offset:         80
        .size:           8
        .value_kind:     hidden_global_offset_z
      - .offset:         88
        .size:           2
        .value_kind:     hidden_grid_dims
    .group_segment_fixed_size: 2048
    .kernarg_segment_align: 8
    .kernarg_segment_size: 280
    .language:       OpenCL C
    .language_version:
      - 2
      - 0
    .max_flat_workgroup_size: 1024
    .name:           _Z24ChannelShuffleNHWCKernelIfLi512EEviiPKT_PS0_
    .private_segment_fixed_size: 0
    .sgpr_count:     18
    .sgpr_spill_count: 0
    .symbol:         _Z24ChannelShuffleNHWCKernelIfLi512EEviiPKT_PS0_.kd
    .uniform_work_group_size: 1
    .uses_dynamic_stack: false
    .vgpr_count:     6
    .vgpr_spill_count: 0
    .wavefront_size: 32
  - .args:
      - .offset:         0
        .size:           4
        .value_kind:     by_value
      - .offset:         4
        .size:           4
        .value_kind:     by_value
      - .offset:         8
        .size:           4
        .value_kind:     by_value
      - .address_space:  global
        .offset:         16
        .size:           8
        .value_kind:     global_buffer
      - .address_space:  global
        .offset:         24
        .size:           8
        .value_kind:     global_buffer
    .group_segment_fixed_size: 0
    .kernarg_segment_align: 8
    .kernarg_segment_size: 32
    .language:       OpenCL C
    .language_version:
      - 2
      - 0
    .max_flat_workgroup_size: 1024
    .name:           _Z24ChannelShuffleNCHWKernelIfLb0EEviiiPKT_PS0_
    .private_segment_fixed_size: 0
    .sgpr_count:     14
    .sgpr_spill_count: 0
    .symbol:         _Z24ChannelShuffleNCHWKernelIfLb0EEviiiPKT_PS0_.kd
    .uniform_work_group_size: 1
    .uses_dynamic_stack: false
    .vgpr_count:     2
    .vgpr_spill_count: 0
    .wavefront_size: 32
  - .args:
      - .offset:         0
        .size:           4
        .value_kind:     by_value
      - .offset:         4
        .size:           4
        .value_kind:     by_value
      - .offset:         8
        .size:           4
        .value_kind:     by_value
      - .address_space:  global
        .offset:         16
        .size:           8
        .value_kind:     global_buffer
      - .address_space:  global
        .offset:         24
        .size:           8
        .value_kind:     global_buffer
    .group_segment_fixed_size: 0
    .kernarg_segment_align: 8
    .kernarg_segment_size: 32
    .language:       OpenCL C
    .language_version:
      - 2
      - 0
    .max_flat_workgroup_size: 1024
    .name:           _Z24ChannelShuffleNCHWKernelIfLb1EEviiiPKT_PS0_
    .private_segment_fixed_size: 0
    .sgpr_count:     13
    .sgpr_spill_count: 0
    .symbol:         _Z24ChannelShuffleNCHWKernelIfLb1EEviiiPKT_PS0_.kd
    .uniform_work_group_size: 1
    .uses_dynamic_stack: false
    .vgpr_count:     2
    .vgpr_spill_count: 0
    .wavefront_size: 32
amdhsa.target:   amdgcn-amd-amdhsa--gfx1250
amdhsa.version:
  - 1
  - 2
...

	.end_amdgpu_metadata
